;; amdgpu-corpus repo=ROCm/rocFFT kind=compiled arch=gfx906 opt=O3
	.text
	.amdgcn_target "amdgcn-amd-amdhsa--gfx906"
	.amdhsa_code_object_version 6
	.protected	fft_rtc_back_len1694_factors_11_2_11_7_wgs_154_tpt_154_halfLds_half_ip_CI_unitstride_sbrr_C2R_dirReg ; -- Begin function fft_rtc_back_len1694_factors_11_2_11_7_wgs_154_tpt_154_halfLds_half_ip_CI_unitstride_sbrr_C2R_dirReg
	.globl	fft_rtc_back_len1694_factors_11_2_11_7_wgs_154_tpt_154_halfLds_half_ip_CI_unitstride_sbrr_C2R_dirReg
	.p2align	8
	.type	fft_rtc_back_len1694_factors_11_2_11_7_wgs_154_tpt_154_halfLds_half_ip_CI_unitstride_sbrr_C2R_dirReg,@function
fft_rtc_back_len1694_factors_11_2_11_7_wgs_154_tpt_154_halfLds_half_ip_CI_unitstride_sbrr_C2R_dirReg: ; @fft_rtc_back_len1694_factors_11_2_11_7_wgs_154_tpt_154_halfLds_half_ip_CI_unitstride_sbrr_C2R_dirReg
; %bb.0:
	s_load_dwordx2 s[2:3], s[4:5], 0x50
	s_load_dwordx4 s[8:11], s[4:5], 0x0
	s_load_dwordx2 s[12:13], s[4:5], 0x18
	v_mul_u32_u24_e32 v1, 0x1aa, v0
	v_add_u32_sdwa v5, s6, v1 dst_sel:DWORD dst_unused:UNUSED_PAD src0_sel:DWORD src1_sel:WORD_1
	v_mov_b32_e32 v3, 0
	s_waitcnt lgkmcnt(0)
	v_cmp_lt_u64_e64 s[0:1], s[10:11], 2
	v_mov_b32_e32 v1, 0
	v_mov_b32_e32 v6, v3
	s_and_b64 vcc, exec, s[0:1]
	v_mov_b32_e32 v2, 0
	s_cbranch_vccnz .LBB0_8
; %bb.1:
	s_load_dwordx2 s[0:1], s[4:5], 0x10
	s_add_u32 s6, s12, 8
	s_addc_u32 s7, s13, 0
	v_mov_b32_e32 v1, 0
	v_mov_b32_e32 v2, 0
	s_waitcnt lgkmcnt(0)
	s_add_u32 s14, s0, 8
	s_addc_u32 s15, s1, 0
	s_mov_b64 s[16:17], 1
.LBB0_2:                                ; =>This Inner Loop Header: Depth=1
	s_load_dwordx2 s[18:19], s[14:15], 0x0
                                        ; implicit-def: $vgpr7_vgpr8
	s_waitcnt lgkmcnt(0)
	v_or_b32_e32 v4, s19, v6
	v_cmp_ne_u64_e32 vcc, 0, v[3:4]
	s_and_saveexec_b64 s[0:1], vcc
	s_xor_b64 s[20:21], exec, s[0:1]
	s_cbranch_execz .LBB0_4
; %bb.3:                                ;   in Loop: Header=BB0_2 Depth=1
	v_cvt_f32_u32_e32 v4, s18
	v_cvt_f32_u32_e32 v7, s19
	s_sub_u32 s0, 0, s18
	s_subb_u32 s1, 0, s19
	v_mac_f32_e32 v4, 0x4f800000, v7
	v_rcp_f32_e32 v4, v4
	v_mul_f32_e32 v4, 0x5f7ffffc, v4
	v_mul_f32_e32 v7, 0x2f800000, v4
	v_trunc_f32_e32 v7, v7
	v_mac_f32_e32 v4, 0xcf800000, v7
	v_cvt_u32_f32_e32 v7, v7
	v_cvt_u32_f32_e32 v4, v4
	v_mul_lo_u32 v8, s0, v7
	v_mul_hi_u32 v9, s0, v4
	v_mul_lo_u32 v11, s1, v4
	v_mul_lo_u32 v10, s0, v4
	v_add_u32_e32 v8, v9, v8
	v_add_u32_e32 v8, v8, v11
	v_mul_hi_u32 v9, v4, v10
	v_mul_lo_u32 v11, v4, v8
	v_mul_hi_u32 v13, v4, v8
	v_mul_hi_u32 v12, v7, v10
	v_mul_lo_u32 v10, v7, v10
	v_mul_hi_u32 v14, v7, v8
	v_add_co_u32_e32 v9, vcc, v9, v11
	v_addc_co_u32_e32 v11, vcc, 0, v13, vcc
	v_mul_lo_u32 v8, v7, v8
	v_add_co_u32_e32 v9, vcc, v9, v10
	v_addc_co_u32_e32 v9, vcc, v11, v12, vcc
	v_addc_co_u32_e32 v10, vcc, 0, v14, vcc
	v_add_co_u32_e32 v8, vcc, v9, v8
	v_addc_co_u32_e32 v9, vcc, 0, v10, vcc
	v_add_co_u32_e32 v4, vcc, v4, v8
	v_addc_co_u32_e32 v7, vcc, v7, v9, vcc
	v_mul_lo_u32 v8, s0, v7
	v_mul_hi_u32 v9, s0, v4
	v_mul_lo_u32 v10, s1, v4
	v_mul_lo_u32 v11, s0, v4
	v_add_u32_e32 v8, v9, v8
	v_add_u32_e32 v8, v8, v10
	v_mul_lo_u32 v12, v4, v8
	v_mul_hi_u32 v13, v4, v11
	v_mul_hi_u32 v14, v4, v8
	;; [unrolled: 1-line block ×3, first 2 shown]
	v_mul_lo_u32 v11, v7, v11
	v_mul_hi_u32 v9, v7, v8
	v_add_co_u32_e32 v12, vcc, v13, v12
	v_addc_co_u32_e32 v13, vcc, 0, v14, vcc
	v_mul_lo_u32 v8, v7, v8
	v_add_co_u32_e32 v11, vcc, v12, v11
	v_addc_co_u32_e32 v10, vcc, v13, v10, vcc
	v_addc_co_u32_e32 v9, vcc, 0, v9, vcc
	v_add_co_u32_e32 v8, vcc, v10, v8
	v_addc_co_u32_e32 v9, vcc, 0, v9, vcc
	v_add_co_u32_e32 v4, vcc, v4, v8
	v_addc_co_u32_e32 v9, vcc, v7, v9, vcc
	v_mad_u64_u32 v[7:8], s[0:1], v5, v9, 0
	v_mul_hi_u32 v10, v5, v4
	v_add_co_u32_e32 v11, vcc, v10, v7
	v_addc_co_u32_e32 v12, vcc, 0, v8, vcc
	v_mad_u64_u32 v[7:8], s[0:1], v6, v4, 0
	v_mad_u64_u32 v[9:10], s[0:1], v6, v9, 0
	v_add_co_u32_e32 v4, vcc, v11, v7
	v_addc_co_u32_e32 v4, vcc, v12, v8, vcc
	v_addc_co_u32_e32 v7, vcc, 0, v10, vcc
	v_add_co_u32_e32 v4, vcc, v4, v9
	v_addc_co_u32_e32 v9, vcc, 0, v7, vcc
	v_mul_lo_u32 v10, s19, v4
	v_mul_lo_u32 v11, s18, v9
	v_mad_u64_u32 v[7:8], s[0:1], s18, v4, 0
	v_add3_u32 v8, v8, v11, v10
	v_sub_u32_e32 v10, v6, v8
	v_mov_b32_e32 v11, s19
	v_sub_co_u32_e32 v7, vcc, v5, v7
	v_subb_co_u32_e64 v10, s[0:1], v10, v11, vcc
	v_subrev_co_u32_e64 v11, s[0:1], s18, v7
	v_subbrev_co_u32_e64 v10, s[0:1], 0, v10, s[0:1]
	v_cmp_le_u32_e64 s[0:1], s19, v10
	v_cndmask_b32_e64 v12, 0, -1, s[0:1]
	v_cmp_le_u32_e64 s[0:1], s18, v11
	v_cndmask_b32_e64 v11, 0, -1, s[0:1]
	v_cmp_eq_u32_e64 s[0:1], s19, v10
	v_cndmask_b32_e64 v10, v12, v11, s[0:1]
	v_add_co_u32_e64 v11, s[0:1], 2, v4
	v_addc_co_u32_e64 v12, s[0:1], 0, v9, s[0:1]
	v_add_co_u32_e64 v13, s[0:1], 1, v4
	v_addc_co_u32_e64 v14, s[0:1], 0, v9, s[0:1]
	v_subb_co_u32_e32 v8, vcc, v6, v8, vcc
	v_cmp_ne_u32_e64 s[0:1], 0, v10
	v_cmp_le_u32_e32 vcc, s19, v8
	v_cndmask_b32_e64 v10, v14, v12, s[0:1]
	v_cndmask_b32_e64 v12, 0, -1, vcc
	v_cmp_le_u32_e32 vcc, s18, v7
	v_cndmask_b32_e64 v7, 0, -1, vcc
	v_cmp_eq_u32_e32 vcc, s19, v8
	v_cndmask_b32_e32 v7, v12, v7, vcc
	v_cmp_ne_u32_e32 vcc, 0, v7
	v_cndmask_b32_e64 v7, v13, v11, s[0:1]
	v_cndmask_b32_e32 v8, v9, v10, vcc
	v_cndmask_b32_e32 v7, v4, v7, vcc
.LBB0_4:                                ;   in Loop: Header=BB0_2 Depth=1
	s_andn2_saveexec_b64 s[0:1], s[20:21]
	s_cbranch_execz .LBB0_6
; %bb.5:                                ;   in Loop: Header=BB0_2 Depth=1
	v_cvt_f32_u32_e32 v4, s18
	s_sub_i32 s20, 0, s18
	v_rcp_iflag_f32_e32 v4, v4
	v_mul_f32_e32 v4, 0x4f7ffffe, v4
	v_cvt_u32_f32_e32 v4, v4
	v_mul_lo_u32 v7, s20, v4
	v_mul_hi_u32 v7, v4, v7
	v_add_u32_e32 v4, v4, v7
	v_mul_hi_u32 v4, v5, v4
	v_mul_lo_u32 v7, v4, s18
	v_add_u32_e32 v8, 1, v4
	v_sub_u32_e32 v7, v5, v7
	v_subrev_u32_e32 v9, s18, v7
	v_cmp_le_u32_e32 vcc, s18, v7
	v_cndmask_b32_e32 v7, v7, v9, vcc
	v_cndmask_b32_e32 v4, v4, v8, vcc
	v_add_u32_e32 v8, 1, v4
	v_cmp_le_u32_e32 vcc, s18, v7
	v_cndmask_b32_e32 v7, v4, v8, vcc
	v_mov_b32_e32 v8, v3
.LBB0_6:                                ;   in Loop: Header=BB0_2 Depth=1
	s_or_b64 exec, exec, s[0:1]
	v_mul_lo_u32 v4, v8, s18
	v_mul_lo_u32 v11, v7, s19
	v_mad_u64_u32 v[9:10], s[0:1], v7, s18, 0
	s_load_dwordx2 s[0:1], s[6:7], 0x0
	s_add_u32 s16, s16, 1
	v_add3_u32 v4, v10, v11, v4
	v_sub_co_u32_e32 v5, vcc, v5, v9
	v_subb_co_u32_e32 v4, vcc, v6, v4, vcc
	s_waitcnt lgkmcnt(0)
	v_mul_lo_u32 v4, s0, v4
	v_mul_lo_u32 v6, s1, v5
	v_mad_u64_u32 v[1:2], s[0:1], s0, v5, v[1:2]
	s_addc_u32 s17, s17, 0
	s_add_u32 s6, s6, 8
	v_add3_u32 v2, v6, v2, v4
	v_mov_b32_e32 v4, s10
	v_mov_b32_e32 v5, s11
	s_addc_u32 s7, s7, 0
	v_cmp_ge_u64_e32 vcc, s[16:17], v[4:5]
	s_add_u32 s14, s14, 8
	s_addc_u32 s15, s15, 0
	s_cbranch_vccnz .LBB0_9
; %bb.7:                                ;   in Loop: Header=BB0_2 Depth=1
	v_mov_b32_e32 v5, v7
	v_mov_b32_e32 v6, v8
	s_branch .LBB0_2
.LBB0_8:
	v_mov_b32_e32 v8, v6
	v_mov_b32_e32 v7, v5
.LBB0_9:
	s_lshl_b64 s[0:1], s[10:11], 3
	s_add_u32 s0, s12, s0
	s_addc_u32 s1, s13, s1
	s_load_dwordx2 s[6:7], s[0:1], 0x0
	s_load_dwordx2 s[10:11], s[4:5], 0x20
	s_waitcnt lgkmcnt(0)
	v_mad_u64_u32 v[1:2], s[0:1], s6, v7, v[1:2]
	v_mul_lo_u32 v3, s6, v8
	v_mul_lo_u32 v4, s7, v7
	s_mov_b32 s0, 0x1a98ef7
	v_mul_hi_u32 v5, v0, s0
	v_cmp_gt_u64_e64 s[0:1], s[10:11], v[7:8]
	v_add3_u32 v2, v4, v2, v3
	v_lshlrev_b64 v[2:3], 2, v[1:2]
	v_mul_u32_u24_e32 v4, 0x9a, v5
	v_sub_u32_e32 v0, v0, v4
	s_and_saveexec_b64 s[4:5], s[0:1]
	s_cbranch_execz .LBB0_13
; %bb.10:
	v_mov_b32_e32 v1, 0
	v_mov_b32_e32 v4, s3
	v_add_co_u32_e32 v5, vcc, s2, v2
	v_lshlrev_b64 v[6:7], 2, v[0:1]
	v_addc_co_u32_e32 v4, vcc, v4, v3, vcc
	v_add_co_u32_e32 v6, vcc, v5, v6
	v_addc_co_u32_e32 v7, vcc, v4, v7, vcc
	s_movk_i32 s6, 0x1000
	v_add_co_u32_e32 v8, vcc, s6, v6
	v_addc_co_u32_e32 v9, vcc, 0, v7, vcc
	global_load_dword v10, v[6:7], off
	global_load_dword v11, v[6:7], off offset:616
	global_load_dword v12, v[6:7], off offset:1232
	;; [unrolled: 1-line block ×10, first 2 shown]
	s_movk_i32 s6, 0x99
	v_lshl_add_u32 v6, v0, 2, 0
	v_cmp_eq_u32_e32 vcc, s6, v0
	v_add_u32_e32 v7, 0x400, v6
	v_add_u32_e32 v8, 0x900, v6
	;; [unrolled: 1-line block ×4, first 2 shown]
	s_waitcnt vmcnt(9)
	ds_write2_b32 v6, v10, v11 offset1:154
	s_waitcnt vmcnt(7)
	ds_write2_b32 v7, v12, v13 offset0:52 offset1:206
	s_waitcnt vmcnt(5)
	ds_write2_b32 v8, v14, v15 offset0:40 offset1:194
	;; [unrolled: 2-line block ×4, first 2 shown]
	s_waitcnt vmcnt(0)
	ds_write_b32 v6, v20 offset:6160
	s_and_saveexec_b64 s[6:7], vcc
	s_cbranch_execz .LBB0_12
; %bb.11:
	v_add_co_u32_e32 v5, vcc, 0x1000, v5
	v_addc_co_u32_e32 v6, vcc, 0, v4, vcc
	global_load_dword v0, v[5:6], off offset:2680
	s_waitcnt vmcnt(0)
	ds_write_b32 v1, v0 offset:6776
	v_mov_b32_e32 v0, 0x99
.LBB0_12:
	s_or_b64 exec, exec, s[6:7]
.LBB0_13:
	s_or_b64 exec, exec, s[4:5]
	v_lshlrev_b32_e32 v1, 2, v0
	v_add_u32_e32 v16, 0, v1
	s_waitcnt lgkmcnt(0)
	s_barrier
	v_sub_u32_e32 v6, 0, v1
	ds_read_u16 v9, v16
	ds_read_u16 v10, v6 offset:6776
	s_add_u32 s6, s8, 0x1a4c
	s_addc_u32 s7, s9, 0
	v_cmp_ne_u32_e32 vcc, 0, v0
                                        ; implicit-def: $vgpr4_vgpr5
	s_waitcnt lgkmcnt(0)
	v_add_f16_e32 v7, v10, v9
	v_sub_f16_e32 v8, v9, v10
	s_and_saveexec_b64 s[4:5], vcc
	s_xor_b64 s[4:5], exec, s[4:5]
	s_cbranch_execz .LBB0_15
; %bb.14:
	v_mov_b32_e32 v1, 0
	v_lshlrev_b64 v[4:5], 2, v[0:1]
	v_mov_b32_e32 v7, s7
	v_add_co_u32_e32 v4, vcc, s6, v4
	v_addc_co_u32_e32 v5, vcc, v7, v5, vcc
	global_load_dword v4, v[4:5], off
	ds_read_u16 v5, v6 offset:6778
	ds_read_u16 v7, v16 offset:2
	v_add_f16_e32 v8, v10, v9
	v_sub_f16_e32 v9, v9, v10
	s_waitcnt lgkmcnt(0)
	v_add_f16_e32 v10, v5, v7
	v_sub_f16_e32 v5, v7, v5
	s_waitcnt vmcnt(0)
	v_lshrrev_b32_e32 v7, 16, v4
	v_fma_f16 v11, v9, v7, v8
	v_fma_f16 v12, v10, v7, v5
	v_fma_f16 v13, -v9, v7, v8
	v_fma_f16 v5, v10, v7, -v5
	v_fma_f16 v7, -v4, v10, v11
	v_fma_f16 v8, v9, v4, v12
	v_fma_f16 v10, v4, v10, v13
	;; [unrolled: 1-line block ×3, first 2 shown]
	v_pack_b32_f16 v4, v10, v4
	ds_write_b32 v6, v4 offset:6776
	v_mov_b32_e32 v5, v1
	v_mov_b32_e32 v4, v0
.LBB0_15:
	s_andn2_saveexec_b64 s[4:5], s[4:5]
	s_cbranch_execz .LBB0_17
; %bb.16:
	v_mov_b32_e32 v1, 0
	ds_read_b32 v4, v1 offset:3388
	s_mov_b32 s10, 0xc0004000
	s_waitcnt lgkmcnt(0)
	v_pk_mul_f16 v9, v4, s10
	v_mov_b32_e32 v4, 0
	v_mov_b32_e32 v5, 0
	ds_write_b32 v1, v9 offset:3388
.LBB0_17:
	s_or_b64 exec, exec, s[4:5]
	v_lshlrev_b64 v[4:5], 2, v[4:5]
	v_mov_b32_e32 v1, s7
	v_add_co_u32_e32 v4, vcc, s6, v4
	v_addc_co_u32_e32 v5, vcc, v1, v5, vcc
	global_load_dword v1, v[4:5], off offset:616
	global_load_dword v9, v[4:5], off offset:1232
	;; [unrolled: 1-line block ×4, first 2 shown]
	s_mov_b32 s4, 0x5040100
	v_perm_b32 v7, v8, v7, s4
	ds_write_b32 v16, v7
	ds_read_b32 v7, v16 offset:616
	ds_read_b32 v8, v6 offset:6160
	s_movk_i32 s4, 0x4d
	v_cmp_gt_u32_e32 vcc, s4, v0
	s_waitcnt lgkmcnt(0)
	v_add_f16_e32 v12, v7, v8
	v_add_f16_sdwa v13, v8, v7 dst_sel:DWORD dst_unused:UNUSED_PAD src0_sel:WORD_1 src1_sel:WORD_1
	v_sub_f16_e32 v14, v7, v8
	v_sub_f16_sdwa v7, v7, v8 dst_sel:DWORD dst_unused:UNUSED_PAD src0_sel:WORD_1 src1_sel:WORD_1
	s_waitcnt vmcnt(3)
	v_lshrrev_b32_e32 v8, 16, v1
	v_fma_f16 v15, v14, v8, v12
	v_fma_f16 v17, v13, v8, v7
	v_fma_f16 v12, -v14, v8, v12
	v_fma_f16 v7, v13, v8, -v7
	v_fma_f16 v8, -v1, v13, v15
	v_fma_f16 v15, v14, v1, v17
	v_fma_f16 v12, v1, v13, v12
	v_fma_f16 v1, v14, v1, v7
	v_pack_b32_f16 v7, v8, v15
	v_pack_b32_f16 v1, v12, v1
	ds_write_b32 v16, v7 offset:616
	ds_write_b32 v6, v1 offset:6160
	ds_read_b32 v1, v16 offset:1232
	ds_read_b32 v7, v6 offset:5544
	s_waitcnt vmcnt(2)
	v_lshrrev_b32_e32 v8, 16, v9
	s_waitcnt lgkmcnt(0)
	v_add_f16_e32 v12, v1, v7
	v_add_f16_sdwa v13, v7, v1 dst_sel:DWORD dst_unused:UNUSED_PAD src0_sel:WORD_1 src1_sel:WORD_1
	v_sub_f16_e32 v14, v1, v7
	v_sub_f16_sdwa v1, v1, v7 dst_sel:DWORD dst_unused:UNUSED_PAD src0_sel:WORD_1 src1_sel:WORD_1
	v_fma_f16 v7, v14, v8, v12
	v_fma_f16 v15, v13, v8, v1
	v_fma_f16 v12, -v14, v8, v12
	v_fma_f16 v1, v13, v8, -v1
	v_fma_f16 v7, -v9, v13, v7
	v_fma_f16 v8, v14, v9, v15
	v_fma_f16 v12, v9, v13, v12
	v_fma_f16 v1, v14, v9, v1
	v_pack_b32_f16 v7, v7, v8
	v_pack_b32_f16 v1, v12, v1
	ds_write_b32 v16, v7 offset:1232
	ds_write_b32 v6, v1 offset:5544
	ds_read_b32 v1, v16 offset:1848
	ds_read_b32 v7, v6 offset:4928
	s_waitcnt vmcnt(1)
	v_lshrrev_b32_e32 v8, 16, v10
	s_waitcnt lgkmcnt(0)
	v_add_f16_e32 v9, v1, v7
	v_add_f16_sdwa v12, v7, v1 dst_sel:DWORD dst_unused:UNUSED_PAD src0_sel:WORD_1 src1_sel:WORD_1
	v_sub_f16_e32 v13, v1, v7
	v_sub_f16_sdwa v1, v1, v7 dst_sel:DWORD dst_unused:UNUSED_PAD src0_sel:WORD_1 src1_sel:WORD_1
	;; [unrolled: 21-line block ×3, first 2 shown]
	v_fma_f16 v7, v12, v8, v9
	v_fma_f16 v13, v10, v8, v1
	v_fma_f16 v9, -v12, v8, v9
	v_fma_f16 v1, v10, v8, -v1
	v_fma_f16 v7, -v11, v10, v7
	v_fma_f16 v8, v12, v11, v13
	v_fma_f16 v9, v11, v10, v9
	;; [unrolled: 1-line block ×3, first 2 shown]
	v_pack_b32_f16 v7, v7, v8
	v_pack_b32_f16 v1, v9, v1
	ds_write_b32 v16, v7 offset:2464
	ds_write_b32 v6, v1 offset:4312
	s_and_saveexec_b64 s[4:5], vcc
	s_cbranch_execz .LBB0_19
; %bb.18:
	global_load_dword v1, v[4:5], off offset:3080
	ds_read_b32 v4, v16 offset:3080
	ds_read_b32 v5, v6 offset:3696
	s_waitcnt lgkmcnt(0)
	v_add_f16_e32 v7, v4, v5
	v_add_f16_sdwa v8, v5, v4 dst_sel:DWORD dst_unused:UNUSED_PAD src0_sel:WORD_1 src1_sel:WORD_1
	v_sub_f16_e32 v9, v4, v5
	v_sub_f16_sdwa v4, v4, v5 dst_sel:DWORD dst_unused:UNUSED_PAD src0_sel:WORD_1 src1_sel:WORD_1
	s_waitcnt vmcnt(0)
	v_lshrrev_b32_e32 v5, 16, v1
	v_fma_f16 v10, v9, v5, v7
	v_fma_f16 v11, v8, v5, v4
	v_fma_f16 v7, -v9, v5, v7
	v_fma_f16 v4, v8, v5, -v4
	v_fma_f16 v5, -v1, v8, v10
	v_fma_f16 v10, v9, v1, v11
	v_fma_f16 v7, v1, v8, v7
	;; [unrolled: 1-line block ×3, first 2 shown]
	v_pack_b32_f16 v4, v5, v10
	v_pack_b32_f16 v1, v7, v1
	ds_write_b32 v16, v4 offset:3080
	ds_write_b32 v6, v1 offset:3696
.LBB0_19:
	s_or_b64 exec, exec, s[4:5]
	s_waitcnt lgkmcnt(0)
	s_barrier
	s_barrier
	ds_read2_b32 v[4:5], v16 offset1:154
	v_add_u32_e32 v14, 0x400, v16
	ds_read2_b32 v[6:7], v14 offset0:52 offset1:206
	v_add_u32_e32 v1, 0x900, v16
	ds_read2_b32 v[8:9], v1 offset0:40 offset1:194
	;; [unrolled: 2-line block ×3, first 2 shown]
	s_waitcnt lgkmcnt(3)
	v_pk_add_f16 v15, v4, v5
	s_waitcnt lgkmcnt(2)
	v_pk_add_f16 v15, v15, v6
	v_add_u32_e32 v1, 0x1200, v16
	v_pk_add_f16 v15, v15, v7
	ds_read2_b32 v[12:13], v1 offset0:80 offset1:234
	ds_read_b32 v1, v16 offset:6160
	s_waitcnt lgkmcnt(3)
	v_pk_add_f16 v15, v15, v8
	v_pk_add_f16 v15, v15, v9
	s_waitcnt lgkmcnt(2)
	v_pk_add_f16 v15, v15, v10
	v_pk_add_f16 v15, v15, v11
	;; [unrolled: 3-line block ×3, first 2 shown]
	s_waitcnt lgkmcnt(0)
	v_pk_add_f16 v17, v1, v5
	v_pk_add_f16 v5, v5, v1 neg_lo:[0,1] neg_hi:[0,1]
	s_mov_b32 s4, 0xb853
	v_pk_add_f16 v15, v15, v1
	v_pk_add_f16 v18, v13, v6
	v_pk_add_f16 v6, v6, v13 neg_lo:[0,1] neg_hi:[0,1]
	v_pk_mul_f16 v1, v5, s4 op_sel_hi:[1,0]
	s_movk_i32 s5, 0x3abb
	s_mov_b32 s6, 0xbb47
	v_pk_add_f16 v13, v12, v7
	v_pk_add_f16 v7, v7, v12 neg_lo:[0,1] neg_hi:[0,1]
	v_pk_add_f16 v12, v11, v8
	v_pk_add_f16 v8, v8, v11 neg_lo:[0,1] neg_hi:[0,1]
	;; [unrolled: 2-line block ×3, first 2 shown]
	v_pk_fma_f16 v10, v17, s5, v1 op_sel:[0,0,1] op_sel_hi:[1,0,0]
	v_pk_fma_f16 v19, v17, s5, v1 op_sel:[0,0,1] op_sel_hi:[1,0,0] neg_lo:[0,0,1] neg_hi:[0,0,1]
	s_mov_b32 s7, 0xffff
	s_movk_i32 s10, 0x36a6
	v_pk_mul_f16 v20, v6, s6 op_sel_hi:[1,0]
	v_bfi_b32 v1, s7, v10, v19
	v_pk_fma_f16 v21, v18, s10, v20 op_sel:[0,0,1] op_sel_hi:[1,0,0]
	v_pk_fma_f16 v20, v18, s10, v20 op_sel:[0,0,1] op_sel_hi:[1,0,0] neg_lo:[0,0,1] neg_hi:[0,0,1]
	v_pk_add_f16 v1, v4, v1
	v_bfi_b32 v22, s7, v21, v20
	s_mov_b32 s13, 0xbbeb
	v_pk_add_f16 v1, v22, v1
	s_mov_b32 s11, 0xb08e
	v_pk_mul_f16 v22, v7, s13 op_sel_hi:[1,0]
	v_pk_fma_f16 v23, v13, s11, v22 op_sel:[0,0,1] op_sel_hi:[1,0,0]
	v_pk_fma_f16 v22, v13, s11, v22 op_sel:[0,0,1] op_sel_hi:[1,0,0] neg_lo:[0,0,1] neg_hi:[0,0,1]
	v_bfi_b32 v24, s7, v23, v22
	s_mov_b32 s14, 0xba0c
	v_pk_add_f16 v1, v24, v1
	s_mov_b32 s15, 0xb93d
	v_pk_mul_f16 v24, v8, s14 op_sel_hi:[1,0]
	v_pk_fma_f16 v25, v12, s15, v24 op_sel:[0,0,1] op_sel_hi:[1,0,0]
	v_pk_fma_f16 v24, v12, s15, v24 op_sel:[0,0,1] op_sel_hi:[1,0,0] neg_lo:[0,0,1] neg_hi:[0,0,1]
	;; [unrolled: 7-line block ×3, first 2 shown]
	v_bfi_b32 v28, s7, v27, v26
	v_pk_add_f16 v28, v28, v1
	v_mad_u32_u24 v1, v0, 40, v16
	s_barrier
	ds_write2_b32 v1, v15, v28 offset1:1
	v_mul_f16_sdwa v15, v5, s6 dst_sel:DWORD dst_unused:UNUSED_PAD src0_sel:WORD_1 src1_sel:DWORD
	v_fma_f16 v28, v17, s10, v15
	v_mul_f16_sdwa v29, v6, s14 dst_sel:DWORD dst_unused:UNUSED_PAD src0_sel:WORD_1 src1_sel:DWORD
	v_add_f16_e32 v28, v4, v28
	v_fma_f16 v30, v18, s15, v29
	v_add_f16_e32 v28, v30, v28
	s_movk_i32 s17, 0x3b47
	v_mul_f16_sdwa v30, v17, s10 dst_sel:DWORD dst_unused:UNUSED_PAD src0_sel:WORD_1 src1_sel:DWORD
	v_fma_f16 v31, v5, s17, v30
	s_movk_i32 s18, 0x3a0c
	v_mul_f16_sdwa v32, v18, s15 dst_sel:DWORD dst_unused:UNUSED_PAD src0_sel:WORD_1 src1_sel:DWORD
	v_add_f16_sdwa v31, v4, v31 dst_sel:DWORD dst_unused:UNUSED_PAD src0_sel:WORD_1 src1_sel:DWORD
	v_fma_f16 v33, v6, s18, v32
	v_add_f16_e32 v31, v33, v31
	v_mul_f16_sdwa v33, v5, s13 dst_sel:DWORD dst_unused:UNUSED_PAD src0_sel:WORD_1 src1_sel:DWORD
	s_movk_i32 s19, 0x3482
	v_fma_f16 v34, v17, s11, v33
	v_mul_f16_sdwa v35, v6, s19 dst_sel:DWORD dst_unused:UNUSED_PAD src0_sel:WORD_1 src1_sel:DWORD
	v_add_f16_e32 v34, v4, v34
	v_fma_f16 v36, v18, s12, v35
	v_add_f16_e32 v34, v36, v34
	s_movk_i32 s20, 0x3beb
	v_mul_f16_sdwa v36, v17, s11 dst_sel:DWORD dst_unused:UNUSED_PAD src0_sel:WORD_1 src1_sel:DWORD
	v_fma_f16 v37, v5, s20, v36
	v_mul_f16_sdwa v38, v18, s12 dst_sel:DWORD dst_unused:UNUSED_PAD src0_sel:WORD_1 src1_sel:DWORD
	v_add_f16_sdwa v37, v4, v37 dst_sel:DWORD dst_unused:UNUSED_PAD src0_sel:WORD_1 src1_sel:DWORD
	v_fma_f16 v39, v6, s16, v38
	v_add_f16_e32 v37, v39, v37
	v_mul_f16_sdwa v39, v7, s19 dst_sel:DWORD dst_unused:UNUSED_PAD src0_sel:WORD_1 src1_sel:DWORD
	v_fma_f16 v40, v13, s12, v39
	v_add_f16_e32 v28, v40, v28
	v_mul_f16_sdwa v40, v13, s12 dst_sel:DWORD dst_unused:UNUSED_PAD src0_sel:WORD_1 src1_sel:DWORD
	;; [unrolled: 3-line block ×7, first 2 shown]
	v_fma_f16 v46, v12, s5, v45
	v_add_f16_e32 v34, v46, v34
	s_movk_i32 s21, 0x3853
	v_mul_f16_sdwa v46, v12, s5 dst_sel:DWORD dst_unused:UNUSED_PAD src0_sel:WORD_1 src1_sel:DWORD
	v_fma_f16 v47, v8, s21, v46
	v_add_f16_e32 v37, v47, v37
	v_mul_f16_sdwa v47, v9, s21 dst_sel:DWORD dst_unused:UNUSED_PAD src0_sel:WORD_1 src1_sel:DWORD
	v_fma_f16 v48, v11, s5, v47
	v_add_f16_e32 v28, v48, v28
	;; [unrolled: 3-line block ×5, first 2 shown]
	v_pack_b32_f16 v34, v34, v37
	v_pack_b32_f16 v28, v28, v31
	ds_write2_b32 v1, v28, v34 offset0:2 offset1:3
	v_pk_mul_f16 v28, v17, s12 op_sel_hi:[1,0]
	v_pk_fma_f16 v31, v5, s16, v28 op_sel:[0,0,1] op_sel_hi:[1,0,0]
	v_pk_mul_f16 v37, v18, s5 op_sel_hi:[1,0]
	v_pk_fma_f16 v28, v5, s16, v28 op_sel:[0,0,1] op_sel_hi:[1,0,0] neg_lo:[1,0,0] neg_hi:[1,0,0]
	v_alignbit_b32 v34, s0, v4, 16
	v_pk_fma_f16 v51, v6, s21, v37 op_sel:[0,0,1] op_sel_hi:[1,0,0]
	v_pk_add_f16 v28, v4, v28 op_sel:[1,0] op_sel_hi:[0,1]
	v_pk_fma_f16 v37, v6, s21, v37 op_sel:[0,0,1] op_sel_hi:[1,0,0] neg_lo:[1,0,0] neg_hi:[1,0,0]
	v_pk_add_f16 v34, v34, v31
	v_pk_add_f16 v28, v37, v28
	v_pk_mul_f16 v37, v13, s15 op_sel_hi:[1,0]
	v_alignbit_b32 v31, s0, v31, 16
	v_alignbit_b32 v52, s0, v51, 16
	v_pk_add_f16 v34, v51, v34
	v_pk_fma_f16 v51, v7, s14, v37 op_sel:[0,0,1] op_sel_hi:[1,0,0]
	v_pk_fma_f16 v37, v7, s14, v37 op_sel:[0,0,1] op_sel_hi:[1,0,0] neg_lo:[1,0,0] neg_hi:[1,0,0]
	v_pk_add_f16 v31, v4, v31
	v_pk_add_f16 v28, v37, v28
	v_pk_mul_f16 v37, v12, s10 op_sel_hi:[1,0]
	v_pk_add_f16 v31, v52, v31
	v_alignbit_b32 v52, s0, v51, 16
	v_pk_add_f16 v34, v51, v34
	v_pk_fma_f16 v51, v8, s17, v37 op_sel:[0,0,1] op_sel_hi:[1,0,0]
	v_pk_fma_f16 v37, v8, s17, v37 op_sel:[0,0,1] op_sel_hi:[1,0,0] neg_lo:[1,0,0] neg_hi:[1,0,0]
	v_pk_add_f16 v28, v37, v28
	v_pk_mul_f16 v37, v11, s11 op_sel_hi:[1,0]
	v_pk_add_f16 v31, v52, v31
	v_alignbit_b32 v52, s0, v51, 16
	v_pk_add_f16 v34, v51, v34
	v_pk_fma_f16 v51, v9, s13, v37 op_sel:[0,0,1] op_sel_hi:[1,0,0]
	v_pk_add_f16 v31, v52, v31
	v_alignbit_b32 v52, s0, v51, 16
	v_pk_fma_f16 v37, v9, s13, v37 op_sel:[0,0,1] op_sel_hi:[1,0,0] neg_lo:[1,0,0] neg_hi:[1,0,0]
	v_pk_add_f16 v31, v52, v31
	v_pk_add_f16 v28, v37, v28
	v_pk_add_f16 v34, v51, v34
	v_alignbit_b32 v34, v34, v28, 16
	v_pack_b32_f16 v28, v31, v28
	ds_write2_b32 v1, v28, v34 offset0:5 offset1:6
	v_fma_f16 v28, v17, s11, -v33
	v_add_f16_e32 v28, v4, v28
	v_fma_f16 v31, v18, s12, -v35
	v_add_f16_e32 v28, v31, v28
	v_fma_f16 v31, v5, s13, v36
	v_add_f16_sdwa v31, v4, v31 dst_sel:DWORD dst_unused:UNUSED_PAD src0_sel:WORD_1 src1_sel:DWORD
	v_fma_f16 v33, v6, s19, v38
	v_add_f16_e32 v31, v33, v31
	v_mul_f16_sdwa v33, v5, s14 dst_sel:DWORD dst_unused:UNUSED_PAD src0_sel:WORD_1 src1_sel:DWORD
	v_fma_f16 v34, v17, s15, -v33
	v_mul_f16_sdwa v35, v6, s20 dst_sel:DWORD dst_unused:UNUSED_PAD src0_sel:WORD_1 src1_sel:DWORD
	v_fma_f16 v41, v13, s10, -v41
	v_add_f16_e32 v34, v4, v34
	v_fma_f16 v36, v18, s11, -v35
	v_add_f16_e32 v28, v41, v28
	v_fma_f16 v41, v7, s17, v42
	v_fma_f16 v45, v12, s5, -v45
	v_add_f16_e32 v34, v36, v34
	v_mul_f16_sdwa v36, v17, s15 dst_sel:DWORD dst_unused:UNUSED_PAD src0_sel:WORD_1 src1_sel:DWORD
	v_add_f16_e32 v31, v41, v31
	v_mul_f16_sdwa v41, v7, s4 dst_sel:DWORD dst_unused:UNUSED_PAD src0_sel:WORD_1 src1_sel:DWORD
	v_add_f16_e32 v28, v45, v28
	v_fma_f16 v45, v8, s4, v46
	v_fma_f16 v49, v11, s15, -v49
	v_fma_f16 v37, v5, s14, v36
	v_mul_f16_sdwa v38, v18, s11 dst_sel:DWORD dst_unused:UNUSED_PAD src0_sel:WORD_1 src1_sel:DWORD
	v_fma_f16 v42, v13, s5, -v41
	v_add_f16_e32 v31, v45, v31
	v_mul_f16_sdwa v45, v8, s16 dst_sel:DWORD dst_unused:UNUSED_PAD src0_sel:WORD_1 src1_sel:DWORD
	v_add_f16_e32 v28, v49, v28
	v_fma_f16 v49, v9, s14, v50
	v_add_f16_sdwa v37, v4, v37 dst_sel:DWORD dst_unused:UNUSED_PAD src0_sel:WORD_1 src1_sel:DWORD
	v_fma_f16 v51, v6, s20, v38
	v_add_f16_e32 v34, v42, v34
	v_mul_f16_sdwa v42, v13, s5 dst_sel:DWORD dst_unused:UNUSED_PAD src0_sel:WORD_1 src1_sel:DWORD
	v_fma_f16 v46, v12, s12, -v45
	v_add_f16_e32 v31, v49, v31
	v_mul_f16_sdwa v49, v9, s17 dst_sel:DWORD dst_unused:UNUSED_PAD src0_sel:WORD_1 src1_sel:DWORD
	v_add_f16_e32 v37, v51, v37
	v_fma_f16 v51, v7, s4, v42
	v_add_f16_e32 v34, v46, v34
	v_mul_f16_sdwa v46, v12, s12 dst_sel:DWORD dst_unused:UNUSED_PAD src0_sel:WORD_1 src1_sel:DWORD
	v_fma_f16 v50, v11, s10, -v49
	v_add_f16_e32 v37, v51, v37
	v_fma_f16 v51, v8, s16, v46
	v_add_f16_e32 v34, v50, v34
	v_mul_f16_sdwa v50, v11, s10 dst_sel:DWORD dst_unused:UNUSED_PAD src0_sel:WORD_1 src1_sel:DWORD
	v_add_f16_e32 v37, v51, v37
	v_fma_f16 v51, v9, s17, v50
	v_add_f16_e32 v37, v51, v37
	v_pack_b32_f16 v28, v28, v31
	v_pack_b32_f16 v31, v34, v37
	v_fma_f16 v15, v17, s10, -v15
	ds_write2_b32 v1, v31, v28 offset0:7 offset1:8
	v_fma_f16 v28, v5, s6, v30
	v_fma_f16 v5, v5, s18, v36
	v_add_f16_e32 v15, v4, v15
	v_fma_f16 v29, v18, s15, -v29
	v_add_f16_e32 v15, v29, v15
	v_fma_f16 v29, v6, s14, v32
	v_fma_f16 v6, v6, s13, v38
	v_add_f16_sdwa v5, v4, v5 dst_sel:DWORD dst_unused:UNUSED_PAD src0_sel:WORD_1 src1_sel:DWORD
	v_add_f16_e32 v5, v6, v5
	v_fma_f16 v6, v13, s12, -v39
	v_add_f16_e32 v6, v6, v15
	v_fma_f16 v15, v7, s19, v40
	v_fma_f16 v7, v7, s21, v42
	;; [unrolled: 1-line block ×3, first 2 shown]
	v_add_f16_sdwa v28, v4, v28 dst_sel:DWORD dst_unused:UNUSED_PAD src0_sel:WORD_1 src1_sel:DWORD
	v_add_f16_e32 v5, v7, v5
	v_fma_f16 v7, v12, s11, -v43
	v_add_f16_e32 v28, v29, v28
	v_fma_f16 v18, v18, s11, v35
	v_add_f16_e32 v17, v4, v17
	v_add_f16_e32 v6, v7, v6
	v_fma_f16 v7, v8, s20, v44
	v_fma_f16 v8, v8, s19, v46
	v_add_f16_e32 v17, v18, v17
	v_add_f16_e32 v15, v15, v28
	v_fma_f16 v13, v13, s5, v41
	v_add_f16_e32 v5, v8, v5
	v_fma_f16 v8, v11, s5, -v47
	v_add_f16_e32 v13, v13, v17
	v_add_f16_e32 v7, v7, v15
	v_fma_f16 v12, v12, s12, v45
	v_add_f16_e32 v6, v8, v6
	v_fma_f16 v8, v9, s21, v48
	v_add_f16_e32 v12, v12, v13
	v_add_f16_e32 v7, v8, v7
	v_fma_f16 v8, v11, s10, v49
	v_fma_f16 v9, v9, s6, v50
	v_add_f16_e32 v8, v8, v12
	v_add_f16_e32 v5, v9, v5
	v_pack_b32_f16 v5, v8, v5
	ds_write_b32 v1, v5 offset:16
	v_bfi_b32 v5, s7, v19, v10
	v_pk_add_f16 v4, v4, v5
	v_bfi_b32 v5, s7, v20, v21
	v_pk_add_f16 v4, v5, v4
	;; [unrolled: 2-line block ×5, first 2 shown]
	v_pack_b32_f16 v4, v6, v7
	ds_write2_b32 v1, v4, v18 offset0:9 offset1:10
	v_add_u32_e32 v4, 0x980, v16
	s_waitcnt lgkmcnt(0)
	s_barrier
	ds_read2_b32 v[7:8], v4 offset0:8 offset1:239
	v_add_u32_e32 v4, 0xf00, v16
	ds_read2_b32 v[5:6], v16 offset1:154
	ds_read2_b32 v[11:12], v4 offset0:41 offset1:195
	ds_read2_b32 v[9:10], v14 offset0:52 offset1:206
	v_add_u32_e32 v4, 0x1400, v16
	ds_read2_b32 v[13:14], v4 offset0:29 offset1:183
	v_lshrrev_b32_e32 v19, 16, v18
                                        ; implicit-def: $vgpr17
                                        ; implicit-def: $vgpr4
	s_and_saveexec_b64 s[4:5], vcc
	s_cbranch_execz .LBB0_21
; %bb.20:
	s_movk_i32 s6, 0xffd8
	v_mad_i32_i24 v1, v0, s6, v1
	ds_read_b32 v18, v1 offset:3080
	ds_read_b32 v4, v16 offset:6468
	s_waitcnt lgkmcnt(1)
	v_lshrrev_b32_e32 v19, 16, v18
	s_waitcnt lgkmcnt(0)
	v_lshrrev_b32_e32 v17, 16, v4
.LBB0_21:
	s_or_b64 exec, exec, s[4:5]
	v_add_u32_e32 v15, 0x134, v0
	s_mov_b32 s4, 0xba2f
	v_mul_u32_u24_sdwa v25, v15, s4 dst_sel:DWORD dst_unused:UNUSED_PAD src0_sel:WORD_0 src1_sel:DWORD
	v_lshrrev_b32_e32 v25, 19, v25
	v_add_u32_e32 v20, 0x1ce, v0
	v_mul_lo_u16_e32 v26, 11, v25
	v_sub_u16_e32 v15, v15, v26
	v_mul_u32_u24_sdwa v26, v20, s4 dst_sel:DWORD dst_unused:UNUSED_PAD src0_sel:WORD_0 src1_sel:DWORD
	v_lshrrev_b32_e32 v26, 19, v26
	v_add_u32_e32 v21, 0x268, v0
	v_mul_lo_u16_e32 v27, 11, v26
	v_sub_u16_e32 v27, v20, v27
	v_mul_u32_u24_sdwa v20, v21, s4 dst_sel:DWORD dst_unused:UNUSED_PAD src0_sel:WORD_0 src1_sel:DWORD
	v_lshrrev_b32_e32 v28, 19, v20
	v_add_u32_e32 v1, 0x9a, v0
	v_add_u32_e32 v22, 0x302, v0
	v_mul_lo_u16_e32 v20, 11, v28
	v_mul_u32_u24_sdwa v23, v1, s4 dst_sel:DWORD dst_unused:UNUSED_PAD src0_sel:WORD_0 src1_sel:DWORD
	v_sub_u16_e32 v29, v21, v20
	v_mul_u32_u24_sdwa v20, v22, s4 dst_sel:DWORD dst_unused:UNUSED_PAD src0_sel:WORD_0 src1_sel:DWORD
	s_movk_i32 s4, 0x75
	v_lshlrev_b32_e32 v30, 2, v15
	v_mul_lo_u16_sdwa v15, v0, s4 dst_sel:DWORD dst_unused:UNUSED_PAD src0_sel:BYTE_0 src1_sel:DWORD
	v_sub_u16_sdwa v35, v0, v15 dst_sel:DWORD dst_unused:UNUSED_PAD src0_sel:DWORD src1_sel:BYTE_1
	v_lshrrev_b16_e32 v35, 1, v35
	v_lshrrev_b32_e32 v20, 19, v20
	v_and_b32_e32 v35, 0x7f, v35
	v_mul_lo_u16_e32 v21, 11, v20
	v_add_u16_sdwa v15, v35, v15 dst_sel:DWORD dst_unused:UNUSED_PAD src0_sel:DWORD src1_sel:BYTE_1
	v_sub_u16_e32 v21, v22, v21
	v_lshrrev_b16_e32 v35, 3, v15
	v_lshrrev_b32_e32 v23, 19, v23
	v_lshlrev_b32_e32 v21, 2, v21
	v_mul_lo_u16_e32 v15, 11, v35
	v_mul_lo_u16_e32 v24, 11, v23
	global_load_dword v22, v21, s[8:9]
	v_sub_u16_e32 v36, v0, v15
	v_mov_b32_e32 v15, 2
	v_sub_u16_e32 v24, v1, v24
	v_lshlrev_b32_e32 v29, 2, v29
	v_lshlrev_b32_sdwa v36, v15, v36 dst_sel:DWORD dst_unused:UNUSED_PAD src0_sel:DWORD src1_sel:BYTE_0
	v_lshlrev_b32_e32 v24, 2, v24
	v_lshlrev_b32_e32 v27, 2, v27
	global_load_dword v31, v29, s[8:9]
	global_load_dword v32, v27, s[8:9]
	;; [unrolled: 1-line block ×5, first 2 shown]
	v_mul_u32_u24_e32 v23, 0x58, v23
	v_mul_u32_u24_e32 v25, 0x58, v25
	;; [unrolled: 1-line block ×4, first 2 shown]
	v_add3_u32 v23, 0, v23, v24
	v_add3_u32 v24, 0, v25, v30
	;; [unrolled: 1-line block ×4, first 2 shown]
	v_mul_u32_u24_e32 v27, 0x58, v35
	v_add3_u32 v27, 0, v27, v36
	s_movk_i32 s6, 0x58
	s_waitcnt vmcnt(0) lgkmcnt(0)
	s_barrier
	v_mul_f16_sdwa v28, v17, v22 dst_sel:DWORD dst_unused:UNUSED_PAD src0_sel:DWORD src1_sel:WORD_1
	v_mul_f16_sdwa v29, v4, v22 dst_sel:DWORD dst_unused:UNUSED_PAD src0_sel:DWORD src1_sel:WORD_1
	v_fma_f16 v4, v4, v22, v28
	v_fma_f16 v17, v17, v22, -v29
	v_sub_f16_e32 v4, v18, v4
	v_pk_mul_f16 v30, v31, v14 op_sel:[0,1]
	v_pk_mul_f16 v35, v32, v13 op_sel:[0,1]
	v_pk_fma_f16 v22, v31, v14, v30 op_sel:[0,0,1] op_sel_hi:[1,1,0]
	v_pk_fma_f16 v14, v31, v14, v30 op_sel:[0,0,1] op_sel_hi:[1,0,0] neg_lo:[1,0,0] neg_hi:[1,0,0]
	v_pk_fma_f16 v28, v32, v13, v35 op_sel:[0,0,1] op_sel_hi:[1,1,0]
	v_pk_fma_f16 v13, v32, v13, v35 op_sel:[0,0,1] op_sel_hi:[1,0,0] neg_lo:[1,0,0] neg_hi:[1,0,0]
	v_bfi_b32 v14, s7, v22, v14
	v_pk_mul_f16 v22, v37, v8 op_sel:[0,1]
	v_pk_mul_f16 v36, v33, v12 op_sel:[0,1]
	;; [unrolled: 1-line block ×3, first 2 shown]
	v_bfi_b32 v13, s7, v28, v13
	v_pk_fma_f16 v28, v37, v8, v22 op_sel:[0,0,1] op_sel_hi:[1,1,0]
	v_pk_fma_f16 v8, v37, v8, v22 op_sel:[0,0,1] op_sel_hi:[1,0,0] neg_lo:[1,0,0] neg_hi:[1,0,0]
	v_pk_fma_f16 v29, v33, v12, v36 op_sel:[0,0,1] op_sel_hi:[1,1,0]
	v_pk_fma_f16 v12, v33, v12, v36 op_sel:[0,0,1] op_sel_hi:[1,0,0] neg_lo:[1,0,0] neg_hi:[1,0,0]
	;; [unrolled: 2-line block ×3, first 2 shown]
	v_bfi_b32 v8, s7, v28, v8
	v_bfi_b32 v12, s7, v29, v12
	;; [unrolled: 1-line block ×3, first 2 shown]
	v_pk_add_f16 v8, v5, v8 neg_lo:[0,1] neg_hi:[0,1]
	v_sub_f16_e32 v17, v19, v17
	v_pk_add_f16 v14, v7, v14 neg_lo:[0,1] neg_hi:[0,1]
	v_pk_add_f16 v13, v10, v13 neg_lo:[0,1] neg_hi:[0,1]
	;; [unrolled: 1-line block ×4, first 2 shown]
	v_pk_fma_f16 v5, v5, 2.0, v8 op_sel_hi:[1,0,1] neg_lo:[0,0,1] neg_hi:[0,0,1]
	v_pk_fma_f16 v7, v7, 2.0, v14 op_sel_hi:[1,0,1] neg_lo:[0,0,1] neg_hi:[0,0,1]
	;; [unrolled: 1-line block ×5, first 2 shown]
	ds_write2_b32 v27, v5, v8 offset1:11
	ds_write2_b32 v23, v6, v11 offset1:11
	;; [unrolled: 1-line block ×5, first 2 shown]
	s_and_saveexec_b64 s[4:5], vcc
	s_cbranch_execz .LBB0_23
; %bb.22:
	v_mul_lo_u16_e32 v7, 22, v20
	v_fma_f16 v5, v18, 2.0, -v4
	v_fma_f16 v6, v19, 2.0, -v17
	v_lshlrev_b32_e32 v7, 2, v7
	s_mov_b32 s7, 0x5040100
	v_add3_u32 v7, 0, v21, v7
	v_pack_b32_f16 v5, v5, v6
	v_perm_b32 v6, v17, v4, s7
	ds_write2_b32 v7, v5, v6 offset1:11
.LBB0_23:
	s_or_b64 exec, exec, s[4:5]
	v_lshrrev_b16_e32 v5, 1, v0
	v_and_b32_e32 v5, 0x7f, v5
	v_mul_lo_u16_e32 v5, 0xbb, v5
	v_lshrrev_b16_e32 v28, 11, v5
	v_mul_lo_u16_e32 v5, 22, v28
	v_sub_u16_e32 v29, v0, v5
	v_mov_b32_e32 v5, 10
	v_mul_u32_u24_sdwa v5, v29, v5 dst_sel:DWORD dst_unused:UNUSED_PAD src0_sel:BYTE_0 src1_sel:DWORD
	v_lshlrev_b32_e32 v18, 2, v5
	s_waitcnt lgkmcnt(0)
	s_barrier
	global_load_dwordx4 v[5:8], v18, s[8:9] offset:44
	global_load_dwordx4 v[9:12], v18, s[8:9] offset:60
	global_load_dwordx2 v[13:14], v18, s[8:9] offset:76
	ds_read2_b32 v[18:19], v16 offset1:154
	ds_read_b32 v30, v16 offset:6160
	v_add_u32_e32 v20, 0x400, v16
	v_add_u32_e32 v24, 0x900, v16
	;; [unrolled: 1-line block ×4, first 2 shown]
	ds_read2_b32 v[20:21], v20 offset0:52 offset1:206
	ds_read2_b32 v[22:23], v22 offset0:28 offset1:182
	;; [unrolled: 1-line block ×4, first 2 shown]
	s_waitcnt lgkmcnt(5)
	v_lshrrev_b32_e32 v32, 16, v19
	s_waitcnt lgkmcnt(4)
	v_lshrrev_b32_e32 v31, 16, v30
	;; [unrolled: 2-line block ×3, first 2 shown]
	v_lshrrev_b32_e32 v38, 16, v21
	s_waitcnt lgkmcnt(1)
	v_lshrrev_b32_e32 v39, 16, v24
	v_lshrrev_b32_e32 v40, 16, v25
	;; [unrolled: 1-line block ×4, first 2 shown]
	s_waitcnt lgkmcnt(0)
	v_lshrrev_b32_e32 v35, 16, v26
	v_lshrrev_b32_e32 v36, 16, v27
	s_mov_b32 s4, 0xb853
	s_movk_i32 s13, 0x3abb
	s_movk_i32 s14, 0x3853
	s_mov_b32 s7, 0xbb47
	s_movk_i32 s11, 0x3b47
	s_mov_b32 s5, 0xbbeb
	s_mov_b32 s12, 0xb08e
	s_movk_i32 s15, 0x3beb
	s_mov_b32 s16, 0xba0c
	s_mov_b32 s17, 0xb93d
	;; [unrolled: 1-line block ×4, first 2 shown]
	s_movk_i32 s21, 0x3482
	v_lshlrev_b32_sdwa v15, v15, v29 dst_sel:DWORD dst_unused:UNUSED_PAD src0_sel:DWORD src1_sel:BYTE_0
	s_waitcnt vmcnt(0)
	s_barrier
	v_cmp_gt_u32_e32 vcc, s6, v0
	v_mul_f16_sdwa v41, v5, v32 dst_sel:DWORD dst_unused:UNUSED_PAD src0_sel:WORD_1 src1_sel:DWORD
	v_mul_f16_sdwa v42, v5, v19 dst_sel:DWORD dst_unused:UNUSED_PAD src0_sel:WORD_1 src1_sel:DWORD
	v_mul_f16_sdwa v43, v6, v37 dst_sel:DWORD dst_unused:UNUSED_PAD src0_sel:WORD_1 src1_sel:DWORD
	v_mul_f16_sdwa v59, v31, v14 dst_sel:DWORD dst_unused:UNUSED_PAD src0_sel:DWORD src1_sel:WORD_1
	v_mul_f16_sdwa v60, v30, v14 dst_sel:DWORD dst_unused:UNUSED_PAD src0_sel:DWORD src1_sel:WORD_1
	v_fma_f16 v19, v5, v19, v41
	v_mul_f16_sdwa v44, v6, v20 dst_sel:DWORD dst_unused:UNUSED_PAD src0_sel:WORD_1 src1_sel:DWORD
	v_mul_f16_sdwa v45, v7, v38 dst_sel:DWORD dst_unused:UNUSED_PAD src0_sel:WORD_1 src1_sel:DWORD
	v_fma_f16 v5, v5, v32, -v42
	v_fma_f16 v20, v6, v20, v43
	v_fma_f16 v30, v30, v14, v59
	v_fma_f16 v14, v31, v14, -v60
	v_add_f16_e32 v31, v19, v18
	v_mul_f16_sdwa v46, v7, v21 dst_sel:DWORD dst_unused:UNUSED_PAD src0_sel:WORD_1 src1_sel:DWORD
	v_mul_f16_sdwa v47, v8, v39 dst_sel:DWORD dst_unused:UNUSED_PAD src0_sel:WORD_1 src1_sel:DWORD
	v_fma_f16 v6, v6, v37, -v44
	v_fma_f16 v21, v7, v21, v45
	v_add_f16_sdwa v32, v5, v18 dst_sel:DWORD dst_unused:UNUSED_PAD src0_sel:DWORD src1_sel:WORD_1
	v_add_f16_e32 v31, v31, v20
	v_mul_f16_sdwa v48, v8, v24 dst_sel:DWORD dst_unused:UNUSED_PAD src0_sel:WORD_1 src1_sel:DWORD
	v_mul_f16_sdwa v49, v9, v40 dst_sel:DWORD dst_unused:UNUSED_PAD src0_sel:WORD_1 src1_sel:DWORD
	v_fma_f16 v7, v7, v38, -v46
	v_fma_f16 v24, v8, v24, v47
	v_add_f16_e32 v32, v32, v6
	v_add_f16_e32 v31, v31, v21
	v_mul_f16_sdwa v50, v9, v25 dst_sel:DWORD dst_unused:UNUSED_PAD src0_sel:WORD_1 src1_sel:DWORD
	v_mul_f16_sdwa v51, v33, v10 dst_sel:DWORD dst_unused:UNUSED_PAD src0_sel:DWORD src1_sel:WORD_1
	v_fma_f16 v8, v8, v39, -v48
	v_fma_f16 v25, v9, v25, v49
	v_add_f16_e32 v32, v32, v7
	v_add_f16_e32 v31, v31, v24
	v_mul_f16_sdwa v52, v22, v10 dst_sel:DWORD dst_unused:UNUSED_PAD src0_sel:DWORD src1_sel:WORD_1
	v_mul_f16_sdwa v53, v34, v11 dst_sel:DWORD dst_unused:UNUSED_PAD src0_sel:DWORD src1_sel:WORD_1
	v_fma_f16 v9, v9, v40, -v50
	v_fma_f16 v22, v22, v10, v51
	v_add_f16_e32 v32, v32, v8
	v_add_f16_e32 v31, v31, v25
	v_mul_f16_sdwa v54, v23, v11 dst_sel:DWORD dst_unused:UNUSED_PAD src0_sel:DWORD src1_sel:WORD_1
	v_mul_f16_sdwa v55, v35, v12 dst_sel:DWORD dst_unused:UNUSED_PAD src0_sel:DWORD src1_sel:WORD_1
	v_fma_f16 v10, v33, v10, -v52
	v_fma_f16 v23, v23, v11, v53
	v_add_f16_e32 v32, v32, v9
	v_add_f16_e32 v31, v31, v22
	v_mul_f16_sdwa v56, v26, v12 dst_sel:DWORD dst_unused:UNUSED_PAD src0_sel:DWORD src1_sel:WORD_1
	v_mul_f16_sdwa v57, v36, v13 dst_sel:DWORD dst_unused:UNUSED_PAD src0_sel:DWORD src1_sel:WORD_1
	v_fma_f16 v11, v34, v11, -v54
	v_fma_f16 v26, v26, v12, v55
	v_add_f16_e32 v32, v32, v10
	v_add_f16_e32 v31, v31, v23
	v_mul_f16_sdwa v58, v27, v13 dst_sel:DWORD dst_unused:UNUSED_PAD src0_sel:DWORD src1_sel:WORD_1
	v_fma_f16 v12, v35, v12, -v56
	v_fma_f16 v27, v27, v13, v57
	v_add_f16_e32 v32, v32, v11
	v_add_f16_e32 v31, v31, v26
	v_fma_f16 v13, v36, v13, -v58
	v_add_f16_e32 v34, v5, v14
	v_sub_f16_e32 v5, v5, v14
	v_add_f16_e32 v32, v32, v12
	v_add_f16_e32 v31, v31, v27
	;; [unrolled: 1-line block ×3, first 2 shown]
	v_sub_f16_e32 v19, v19, v30
	v_add_f16_e32 v32, v32, v13
	v_add_f16_e32 v30, v31, v30
	v_mul_f16_e32 v31, 0xb853, v5
	v_mul_f16_e32 v35, 0x3abb, v34
	v_mul_f16_e32 v37, 0xbb47, v5
	v_mul_f16_e32 v39, 0x36a6, v34
	v_mul_f16_e32 v41, 0xbbeb, v5
	v_mul_f16_e32 v43, 0xb08e, v34
	v_mul_f16_e32 v45, 0xba0c, v5
	v_mul_f16_e32 v47, 0xb93d, v34
	v_mul_f16_e32 v5, 0xb482, v5
	v_mul_f16_e32 v34, 0xbbad, v34
	v_add_f16_e32 v14, v32, v14
	v_fma_f16 v32, v33, s13, v31
	v_fma_f16 v36, v19, s14, v35
	v_fma_f16 v31, v33, s13, -v31
	v_fma_f16 v35, v19, s4, v35
	v_fma_f16 v38, v33, s10, v37
	v_fma_f16 v40, v19, s11, v39
	v_fma_f16 v37, v33, s10, -v37
	v_fma_f16 v39, v19, s7, v39
	v_fma_f16 v42, v33, s12, v41
	v_fma_f16 v44, v19, s15, v43
	v_fma_f16 v41, v33, s12, -v41
	v_fma_f16 v43, v19, s5, v43
	v_fma_f16 v46, v33, s17, v45
	v_fma_f16 v48, v19, s18, v47
	v_fma_f16 v45, v33, s17, -v45
	v_fma_f16 v47, v19, s16, v47
	v_fma_f16 v49, v33, s20, v5
	v_fma_f16 v50, v19, s21, v34
	v_fma_f16 v5, v33, s20, -v5
	v_fma_f16 v19, v19, s19, v34
	v_add_f16_e32 v33, v6, v13
	v_sub_f16_e32 v6, v6, v13
	v_add_f16_e32 v32, v32, v18
	v_add_f16_sdwa v36, v36, v18 dst_sel:DWORD dst_unused:UNUSED_PAD src0_sel:DWORD src1_sel:WORD_1
	v_add_f16_e32 v31, v31, v18
	v_add_f16_sdwa v35, v35, v18 dst_sel:DWORD dst_unused:UNUSED_PAD src0_sel:DWORD src1_sel:WORD_1
	;; [unrolled: 2-line block ×10, first 2 shown]
	v_add_f16_e32 v19, v20, v27
	v_mul_f16_e32 v13, 0xbb47, v6
	v_sub_f16_e32 v20, v20, v27
	v_fma_f16 v27, v19, s10, v13
	v_add_f16_e32 v27, v27, v32
	v_mul_f16_e32 v32, 0x36a6, v33
	v_fma_f16 v13, v19, s10, -v13
	v_fma_f16 v34, v20, s11, v32
	v_add_f16_e32 v13, v13, v31
	v_fma_f16 v31, v20, s7, v32
	v_mul_f16_e32 v32, 0xba0c, v6
	v_add_f16_e32 v34, v34, v36
	v_add_f16_e32 v31, v31, v35
	v_fma_f16 v35, v19, s17, v32
	v_mul_f16_e32 v36, 0xb93d, v33
	v_fma_f16 v32, v19, s17, -v32
	v_add_f16_e32 v35, v35, v38
	v_fma_f16 v38, v20, s18, v36
	v_add_f16_e32 v32, v32, v37
	v_fma_f16 v36, v20, s16, v36
	v_mul_f16_e32 v37, 0x3482, v6
	v_add_f16_e32 v38, v38, v40
	v_add_f16_e32 v36, v36, v39
	v_fma_f16 v39, v19, s20, v37
	v_mul_f16_e32 v40, 0xbbad, v33
	v_fma_f16 v37, v19, s20, -v37
	v_add_f16_e32 v39, v39, v42
	v_fma_f16 v42, v20, s19, v40
	v_add_f16_e32 v37, v37, v41
	v_fma_f16 v40, v20, s21, v40
	v_mul_f16_e32 v41, 0x3beb, v6
	v_add_f16_e32 v40, v40, v43
	v_fma_f16 v43, v19, s12, v41
	v_fma_f16 v41, v19, s12, -v41
	v_mul_f16_e32 v6, 0x3853, v6
	v_add_f16_e32 v42, v42, v44
	v_mul_f16_e32 v44, 0xb08e, v33
	v_add_f16_e32 v41, v41, v45
	v_fma_f16 v45, v19, s13, v6
	v_mul_f16_e32 v33, 0x3abb, v33
	v_fma_f16 v6, v19, s13, -v6
	v_add_f16_e32 v5, v6, v5
	v_fma_f16 v6, v20, s14, v33
	v_add_f16_e32 v19, v7, v12
	v_sub_f16_e32 v7, v7, v12
	v_add_f16_e32 v43, v43, v46
	v_fma_f16 v46, v20, s5, v44
	v_fma_f16 v44, v20, s15, v44
	v_add_f16_e32 v6, v6, v18
	v_add_f16_e32 v18, v21, v26
	v_mul_f16_e32 v12, 0xbbeb, v7
	v_add_f16_e32 v44, v44, v47
	v_fma_f16 v47, v20, s4, v33
	v_sub_f16_e32 v20, v21, v26
	v_fma_f16 v21, v18, s12, v12
	v_mul_f16_e32 v26, 0xb08e, v19
	v_fma_f16 v12, v18, s12, -v12
	v_add_f16_e32 v21, v21, v27
	v_fma_f16 v27, v20, s15, v26
	v_add_f16_e32 v12, v12, v13
	v_fma_f16 v13, v20, s5, v26
	v_mul_f16_e32 v26, 0x3482, v7
	v_add_f16_e32 v13, v13, v31
	v_fma_f16 v31, v18, s20, v26
	v_mul_f16_e32 v33, 0xbbad, v19
	v_fma_f16 v26, v18, s20, -v26
	v_add_f16_e32 v27, v27, v34
	v_fma_f16 v34, v20, s19, v33
	v_add_f16_e32 v26, v26, v32
	v_fma_f16 v32, v20, s21, v33
	v_mul_f16_e32 v33, 0x3b47, v7
	v_add_f16_e32 v31, v31, v35
	v_fma_f16 v35, v18, s10, v33
	v_fma_f16 v33, v18, s10, -v33
	v_add_f16_e32 v32, v32, v36
	v_mul_f16_e32 v36, 0x36a6, v19
	v_add_f16_e32 v33, v33, v37
	v_mul_f16_e32 v37, 0xb853, v7
	v_add_f16_e32 v34, v34, v38
	v_add_f16_e32 v35, v35, v39
	v_fma_f16 v38, v20, s7, v36
	v_fma_f16 v36, v20, s11, v36
	;; [unrolled: 1-line block ×3, first 2 shown]
	v_fma_f16 v37, v18, s13, -v37
	v_mul_f16_e32 v7, 0xba0c, v7
	v_add_f16_e32 v36, v36, v40
	v_mul_f16_e32 v40, 0x3abb, v19
	v_add_f16_e32 v37, v37, v41
	v_fma_f16 v41, v18, s17, v7
	v_mul_f16_e32 v19, 0xb93d, v19
	v_fma_f16 v7, v18, s17, -v7
	v_add_f16_e32 v5, v7, v5
	v_fma_f16 v7, v20, s16, v19
	v_add_f16_e32 v18, v8, v11
	v_sub_f16_e32 v8, v8, v11
	v_add_f16_e32 v6, v7, v6
	v_add_f16_e32 v7, v24, v23
	v_mul_f16_e32 v11, 0xba0c, v8
	v_add_f16_e32 v38, v38, v42
	v_add_f16_e32 v39, v39, v43
	v_fma_f16 v42, v20, s14, v40
	v_fma_f16 v40, v20, s4, v40
	;; [unrolled: 1-line block ×4, first 2 shown]
	v_sub_f16_e32 v19, v24, v23
	v_add_f16_e32 v20, v20, v21
	v_mul_f16_e32 v21, 0xb93d, v18
	v_fma_f16 v11, v7, s17, -v11
	v_add_f16_e32 v11, v11, v12
	v_fma_f16 v12, v19, s16, v21
	v_add_f16_e32 v12, v12, v13
	v_mul_f16_e32 v13, 0x3beb, v8
	v_fma_f16 v23, v19, s18, v21
	v_fma_f16 v21, v7, s12, v13
	v_mul_f16_e32 v24, 0xb08e, v18
	v_fma_f16 v13, v7, s12, -v13
	v_add_f16_e32 v23, v23, v27
	v_fma_f16 v27, v19, s5, v24
	v_add_f16_e32 v13, v13, v26
	v_fma_f16 v24, v19, s15, v24
	v_mul_f16_e32 v26, 0xb853, v8
	v_add_f16_e32 v21, v21, v31
	v_add_f16_e32 v24, v24, v32
	v_fma_f16 v31, v7, s13, v26
	v_mul_f16_e32 v32, 0x3abb, v18
	v_fma_f16 v26, v7, s13, -v26
	v_add_f16_e32 v27, v27, v34
	v_fma_f16 v34, v19, s14, v32
	v_add_f16_e32 v26, v26, v33
	v_fma_f16 v32, v19, s4, v32
	v_mul_f16_e32 v33, 0xb482, v8
	v_add_f16_e32 v46, v46, v48
	v_add_f16_e32 v31, v31, v35
	;; [unrolled: 1-line block ×3, first 2 shown]
	v_fma_f16 v35, v7, s20, v33
	v_mul_f16_e32 v36, 0xbbad, v18
	v_fma_f16 v33, v7, s20, -v33
	v_mul_f16_e32 v8, 0x3b47, v8
	v_add_f16_e32 v45, v45, v49
	v_add_f16_e32 v42, v42, v46
	;; [unrolled: 1-line block ×3, first 2 shown]
	v_fma_f16 v38, v19, s21, v36
	v_add_f16_e32 v33, v33, v37
	v_fma_f16 v37, v7, s10, v8
	v_mul_f16_e32 v18, 0x36a6, v18
	v_fma_f16 v7, v7, s10, -v8
	v_add_f16_e32 v40, v40, v44
	v_add_f16_e32 v41, v41, v45
	;; [unrolled: 1-line block ×3, first 2 shown]
	v_fma_f16 v36, v19, s19, v36
	v_add_f16_e32 v5, v7, v5
	v_fma_f16 v7, v19, s11, v18
	v_add_f16_e32 v42, v9, v10
	v_sub_f16_e32 v10, v9, v10
	v_add_f16_e32 v36, v36, v40
	v_add_f16_e32 v37, v37, v41
	v_add_f16_e32 v40, v7, v6
	v_add_f16_e32 v41, v25, v22
	v_mul_f16_e32 v6, 0xb482, v10
	v_fma_f16 v7, v41, s20, v6
	v_sub_f16_e32 v22, v25, v22
	v_add_f16_e32 v25, v7, v20
	v_mul_f16_e32 v7, 0xbbad, v42
	v_fma_f16 v6, v41, s20, -v6
	v_add_f16_e32 v9, v6, v11
	v_fma_f16 v6, v22, s19, v7
	v_add_f16_e32 v20, v6, v12
	v_mul_f16_e32 v6, 0x3853, v10
	v_fma_f16 v8, v22, s21, v7
	v_fma_f16 v7, v41, s13, v6
	v_add_f16_e32 v11, v7, v21
	v_mul_f16_e32 v7, 0x3abb, v42
	v_add_f16_e32 v23, v8, v23
	v_fma_f16 v8, v22, s4, v7
	v_fma_f16 v6, v41, s13, -v6
	v_add_f16_e32 v12, v8, v27
	v_add_f16_e32 v8, v6, v13
	v_fma_f16 v6, v22, s14, v7
	v_add_f16_e32 v35, v35, v39
	v_fma_f16 v39, v19, s7, v18
	v_add_f16_e32 v19, v6, v24
	v_mul_f16_e32 v6, 0xba0c, v10
	v_fma_f16 v7, v41, s17, v6
	v_mul_f16_e32 v18, 0xb93d, v42
	v_add_f16_e32 v13, v7, v31
	v_fma_f16 v7, v22, s18, v18
	v_fma_f16 v6, v41, s17, -v6
	v_add_f16_e32 v24, v7, v34
	v_add_f16_e32 v7, v6, v26
	v_fma_f16 v6, v22, s16, v18
	v_add_f16_e32 v21, v6, v32
	v_mul_f16_e32 v6, 0x3b47, v10
	v_fma_f16 v18, v41, s10, v6
	v_mul_f16_e32 v10, 0xbbeb, v10
	v_add_f16_e32 v26, v18, v35
	v_mul_f16_e32 v18, 0x36a6, v42
	v_fma_f16 v31, v41, s12, v10
	v_mul_f16_e32 v32, 0xb08e, v42
	v_fma_f16 v10, v41, s12, -v10
	v_add_f16_e32 v47, v47, v50
	v_fma_f16 v27, v22, s7, v18
	v_fma_f16 v6, v41, s10, -v6
	v_fma_f16 v18, v22, s11, v18
	v_add_f16_e32 v5, v10, v5
	v_fma_f16 v10, v22, s5, v32
	v_add_f16_e32 v43, v43, v47
	v_add_f16_e32 v6, v6, v33
	;; [unrolled: 1-line block ×3, first 2 shown]
	v_fma_f16 v33, v22, s15, v32
	v_add_f16_e32 v10, v10, v40
	v_mul_u32_u24_e32 v22, 0x3c8, v28
	v_add_f16_e32 v39, v39, v43
	v_add3_u32 v15, 0, v22, v15
	v_pack_b32_f16 v5, v5, v10
	v_pack_b32_f16 v10, v6, v18
	v_add_f16_e32 v27, v27, v38
	v_add_f16_e32 v31, v31, v37
	;; [unrolled: 1-line block ×3, first 2 shown]
	v_pack_b32_f16 v11, v11, v12
	v_pack_b32_f16 v12, v13, v24
	ds_write2_b32 v15, v5, v10 offset0:132 offset1:154
	v_pack_b32_f16 v5, v7, v21
	v_pack_b32_f16 v10, v8, v19
	;; [unrolled: 1-line block ×4, first 2 shown]
	ds_write2_b32 v15, v11, v12 offset0:44 offset1:66
	v_pack_b32_f16 v11, v26, v27
	v_pack_b32_f16 v12, v31, v33
	ds_write2_b32 v15, v5, v10 offset0:176 offset1:198
	v_pack_b32_f16 v5, v9, v20
	v_add_u32_e32 v25, 0x780, v16
	v_add_u32_e32 v26, 0xf00, v16
	ds_write2_b32 v15, v14, v22 offset1:22
	ds_write2_b32 v15, v11, v12 offset0:88 offset1:110
	ds_write_b32 v15, v5 offset:880
	s_waitcnt lgkmcnt(0)
	s_barrier
	ds_read2_b32 v[10:11], v16 offset1:242
	ds_read2_b32 v[12:13], v25 offset0:4 offset1:246
	ds_read2_b32 v[14:15], v26 offset0:8 offset1:250
	ds_read_b32 v27, v16 offset:5808
                                        ; implicit-def: $vgpr23
                                        ; implicit-def: $vgpr24
                                        ; implicit-def: $vgpr22
	s_and_saveexec_b64 s[4:5], vcc
	s_cbranch_execz .LBB0_25
; %bb.24:
	v_add_u32_e32 v4, 0x240, v16
	ds_read2_b32 v[6:7], v4 offset0:10 offset1:252
	v_add_u32_e32 v4, 0x9e0, v16
	ds_read2_b32 v[8:9], v4 offset0:6 offset1:248
	;; [unrolled: 2-line block ×3, first 2 shown]
	ds_read_u16 v19, v16 offset:2554
	ds_read_b32 v24, v16 offset:6424
	s_waitcnt lgkmcnt(4)
	v_lshrrev_b32_e32 v18, 16, v6
	v_lshrrev_b32_e32 v21, 16, v7
	s_waitcnt lgkmcnt(3)
	v_lshrrev_b32_e32 v20, 16, v9
	s_waitcnt lgkmcnt(2)
	v_lshrrev_b32_e32 v17, 16, v4
	v_lshrrev_b32_e32 v22, 16, v5
	s_waitcnt lgkmcnt(0)
	v_lshrrev_b32_e32 v23, 16, v24
.LBB0_25:
	s_or_b64 exec, exec, s[4:5]
	v_mul_u32_u24_e32 v28, 6, v0
	v_lshlrev_b32_e32 v34, 2, v28
	global_load_dwordx4 v[28:31], v34, s[8:9] offset:924
	global_load_dwordx2 v[32:33], v34, s[8:9] offset:940
	s_waitcnt lgkmcnt(0)
	v_lshrrev_b32_e32 v34, 16, v27
	v_lshrrev_b32_e32 v35, 16, v15
	;; [unrolled: 1-line block ×6, first 2 shown]
	s_movk_i32 s10, 0x2b26
	s_mov_b32 s11, 0xbcab
	s_movk_i32 s7, 0x39e0
	s_mov_b32 s12, 0xb9e0
	s_mov_b32 s15, 0xb574
	;; [unrolled: 1-line block ×3, first 2 shown]
	s_movk_i32 s13, 0x3574
	s_mov_b32 s14, 0xb70e
	s_waitcnt vmcnt(0)
	s_barrier
	v_mul_f16_sdwa v40, v28, v39 dst_sel:DWORD dst_unused:UNUSED_PAD src0_sel:WORD_1 src1_sel:DWORD
	v_mul_f16_sdwa v41, v28, v11 dst_sel:DWORD dst_unused:UNUSED_PAD src0_sel:WORD_1 src1_sel:DWORD
	;; [unrolled: 1-line block ×12, first 2 shown]
	v_fma_f16 v11, v28, v11, v40
	v_fma_f16 v28, v28, v39, -v41
	v_fma_f16 v12, v29, v12, v42
	v_fma_f16 v29, v29, v38, -v43
	;; [unrolled: 2-line block ×6, first 2 shown]
	v_add_f16_e32 v34, v11, v27
	v_add_f16_e32 v35, v28, v33
	v_sub_f16_e32 v11, v11, v27
	v_sub_f16_e32 v27, v28, v33
	v_add_f16_e32 v28, v12, v15
	v_add_f16_e32 v33, v29, v32
	v_sub_f16_e32 v12, v12, v15
	v_sub_f16_e32 v15, v29, v32
	;; [unrolled: 4-line block ×4, first 2 shown]
	v_sub_f16_e32 v34, v34, v29
	v_sub_f16_e32 v35, v35, v32
	;; [unrolled: 1-line block ×4, first 2 shown]
	v_add_f16_e32 v38, v13, v12
	v_add_f16_e32 v39, v14, v15
	v_sub_f16_e32 v40, v13, v12
	v_sub_f16_e32 v41, v14, v15
	v_add_f16_e32 v29, v29, v30
	v_add_f16_e32 v30, v32, v31
	v_sub_f16_e32 v13, v11, v13
	v_sub_f16_e32 v14, v27, v14
	v_sub_f16_e32 v12, v12, v11
	v_sub_f16_e32 v15, v15, v27
	v_add_f16_e32 v11, v38, v11
	v_add_f16_e32 v27, v39, v27
	v_mul_f16_e32 v31, 0x3a52, v34
	v_mul_f16_e32 v32, 0x3a52, v35
	;; [unrolled: 1-line block ×6, first 2 shown]
	v_add_f16_e32 v42, v29, v10
	v_add_f16_sdwa v10, v30, v10 dst_sel:DWORD dst_unused:UNUSED_PAD src0_sel:DWORD src1_sel:WORD_1
	v_mul_f16_e32 v40, 0xbb00, v12
	v_mul_f16_e32 v41, 0xbb00, v15
	v_fma_f16 v28, v28, s10, v31
	v_fma_f16 v33, v33, s10, v32
	v_fma_f16 v34, v36, s7, -v34
	v_fma_f16 v35, v37, s7, -v35
	;; [unrolled: 1-line block ×4, first 2 shown]
	v_fma_f16 v29, v29, s11, v42
	v_fma_f16 v30, v30, s11, v10
	;; [unrolled: 1-line block ×4, first 2 shown]
	v_fma_f16 v12, v12, s6, -v38
	v_fma_f16 v15, v15, s6, -v39
	;; [unrolled: 1-line block ×4, first 2 shown]
	v_add_f16_e32 v28, v28, v29
	v_add_f16_e32 v33, v33, v30
	;; [unrolled: 1-line block ×6, first 2 shown]
	v_fma_f16 v31, v11, s14, v36
	v_fma_f16 v32, v27, s14, v37
	;; [unrolled: 1-line block ×6, first 2 shown]
	v_add_f16_e32 v14, v32, v28
	v_sub_f16_e32 v27, v33, v31
	v_add_f16_e32 v36, v13, v29
	v_sub_f16_e32 v37, v30, v11
	v_sub_f16_e32 v38, v34, v15
	v_add_f16_e32 v39, v12, v35
	v_pack_b32_f16 v10, v42, v10
	v_pack_b32_f16 v14, v14, v27
	v_add_f16_e32 v15, v15, v34
	v_sub_f16_e32 v12, v35, v12
	v_sub_f16_e32 v13, v29, v13
	v_add_f16_e32 v11, v11, v30
	ds_write2_b32 v16, v10, v14 offset1:242
	v_pack_b32_f16 v10, v36, v37
	v_pack_b32_f16 v14, v38, v39
	v_sub_f16_e32 v28, v28, v32
	v_add_f16_e32 v29, v31, v33
	ds_write2_b32 v25, v10, v14 offset0:4 offset1:246
	v_pack_b32_f16 v10, v15, v12
	v_pack_b32_f16 v11, v13, v11
	ds_write2_b32 v26, v10, v11 offset0:8 offset1:250
	v_pack_b32_f16 v10, v28, v29
	ds_write_b32 v16, v10 offset:5808
	s_and_saveexec_b64 s[4:5], vcc
	s_cbranch_execz .LBB0_27
; %bb.26:
	v_add_u32_e32 v10, 0xffffffa8, v0
	v_cndmask_b32_e32 v1, v10, v1, vcc
	v_mul_i32_i24_e32 v10, 6, v1
	v_mov_b32_e32 v11, 0
	v_lshlrev_b64 v[10:11], 2, v[10:11]
	v_mov_b32_e32 v1, s9
	v_add_co_u32_e32 v14, vcc, s8, v10
	v_addc_co_u32_e32 v15, vcc, v1, v11, vcc
	global_load_dwordx4 v[10:13], v[14:15], off offset:924
	global_load_dwordx2 v[25:26], v[14:15], off offset:940
	s_waitcnt vmcnt(1)
	v_mul_f16_sdwa v1, v21, v10 dst_sel:DWORD dst_unused:UNUSED_PAD src0_sel:DWORD src1_sel:WORD_1
	s_waitcnt vmcnt(0)
	v_mul_f16_sdwa v14, v23, v26 dst_sel:DWORD dst_unused:UNUSED_PAD src0_sel:DWORD src1_sel:WORD_1
	v_mul_f16_sdwa v15, v17, v13 dst_sel:DWORD dst_unused:UNUSED_PAD src0_sel:DWORD src1_sel:WORD_1
	;; [unrolled: 1-line block ×11, first 2 shown]
	v_fma_f16 v1, v7, v10, v1
	v_fma_f16 v7, v24, v26, v14
	;; [unrolled: 1-line block ×6, first 2 shown]
	v_fma_f16 v14, v23, v26, -v30
	v_fma_f16 v10, v21, v10, -v31
	;; [unrolled: 1-line block ×6, first 2 shown]
	v_sub_f16_e32 v17, v1, v7
	v_sub_f16_e32 v19, v4, v9
	;; [unrolled: 1-line block ×3, first 2 shown]
	v_add_f16_e32 v21, v10, v14
	v_add_f16_e32 v23, v11, v15
	;; [unrolled: 1-line block ×5, first 2 shown]
	v_sub_f16_e32 v7, v10, v14
	v_sub_f16_e32 v8, v13, v12
	;; [unrolled: 1-line block ×3, first 2 shown]
	v_add_f16_e32 v22, v12, v13
	v_add_f16_e32 v15, v23, v21
	;; [unrolled: 1-line block ×3, first 2 shown]
	v_sub_f16_e32 v26, v7, v8
	v_sub_f16_e32 v27, v8, v9
	v_add_f16_e32 v8, v8, v9
	v_sub_f16_e32 v10, v17, v19
	v_sub_f16_e32 v11, v19, v20
	v_add_f16_e32 v12, v19, v20
	v_sub_f16_e32 v13, v21, v22
	v_sub_f16_e32 v19, v1, v4
	;; [unrolled: 1-line block ×4, first 2 shown]
	v_add_f16_e32 v15, v22, v15
	v_add_f16_e32 v4, v4, v25
	v_add_f16_e32 v8, v8, v7
	v_sub_f16_e32 v7, v9, v7
	v_sub_f16_e32 v14, v22, v23
	;; [unrolled: 1-line block ×4, first 2 shown]
	v_mul_f16_e32 v5, 0x3846, v11
	v_add_f16_e32 v11, v12, v17
	v_mul_f16_e32 v12, 0x3a52, v13
	v_mul_f16_e32 v17, 0x3a52, v19
	;; [unrolled: 1-line block ×5, first 2 shown]
	v_add_f16_e32 v18, v18, v15
	v_add_f16_e32 v6, v6, v4
	v_mul_f16_e32 v9, 0xbb00, v7
	v_mul_f16_e32 v13, 0x2b26, v14
	v_fma_f16 v25, v10, s15, v5
	v_fma_f16 v14, v14, s10, v12
	;; [unrolled: 1-line block ×4, first 2 shown]
	v_fma_f16 v10, v10, s13, -v23
	v_fma_f16 v12, v21, s12, -v12
	;; [unrolled: 1-line block ×3, first 2 shown]
	v_fma_f16 v15, v15, s11, v18
	v_fma_f16 v4, v4, s11, v6
	v_fma_f16 v9, v26, s13, -v9
	v_fma_f16 v7, v7, s6, -v22
	;; [unrolled: 1-line block ×3, first 2 shown]
	v_fma_f16 v23, v11, s14, v25
	v_fma_f16 v25, v8, s14, v27
	v_fma_f16 v10, v11, s14, v10
	v_add_f16_e32 v14, v14, v15
	v_add_f16_e32 v24, v24, v4
	;; [unrolled: 1-line block ×4, first 2 shown]
	v_fma_f16 v9, v8, s14, v9
	v_fma_f16 v13, v21, s7, -v13
	v_fma_f16 v5, v20, s6, -v5
	v_fma_f16 v7, v8, s14, v7
	v_add_f16_e32 v1, v1, v4
	v_add_f16_e32 v29, v10, v12
	v_sub_f16_e32 v26, v17, v9
	v_add_f16_e32 v13, v13, v15
	v_fma_f16 v5, v11, s14, v5
	v_add_f16_e32 v4, v7, v1
	v_sub_f16_e32 v1, v1, v7
	v_sub_f16_e32 v7, v12, v10
	v_add_f16_e32 v8, v9, v17
	v_sub_f16_e32 v9, v14, v23
	v_add_f16_e32 v10, v25, v24
	;; [unrolled: 2-line block ×3, first 2 shown]
	v_pack_b32_f16 v6, v6, v18
	v_pack_b32_f16 v9, v10, v9
	v_add_u32_e32 v10, 0x240, v16
	ds_write2_b32 v10, v6, v9 offset0:10 offset1:252
	v_pack_b32_f16 v6, v8, v7
	v_pack_b32_f16 v1, v1, v5
	v_add_u32_e32 v5, 0x9e0, v16
	v_add_f16_e32 v27, v23, v14
	v_sub_f16_e32 v28, v24, v25
	ds_write2_b32 v5, v6, v1 offset0:6 offset1:248
	v_pack_b32_f16 v1, v4, v11
	v_pack_b32_f16 v4, v26, v29
	v_add_u32_e32 v5, 0x1180, v16
	ds_write2_b32 v5, v1, v4 offset0:2 offset1:244
	v_pack_b32_f16 v1, v28, v27
	ds_write_b32 v16, v1 offset:6424
.LBB0_27:
	s_or_b64 exec, exec, s[4:5]
	s_waitcnt lgkmcnt(0)
	s_barrier
	s_and_saveexec_b64 s[4:5], s[0:1]
	s_cbranch_execz .LBB0_29
; %bb.28:
	v_lshl_add_u32 v6, v0, 2, 0
	v_mov_b32_e32 v1, 0
	ds_read2_b32 v[4:5], v6 offset1:154
	v_mov_b32_e32 v7, s3
	v_add_co_u32_e32 v8, vcc, s2, v2
	v_addc_co_u32_e32 v7, vcc, v7, v3, vcc
	v_lshlrev_b64 v[2:3], 2, v[0:1]
	v_add_co_u32_e32 v2, vcc, v8, v2
	v_addc_co_u32_e32 v3, vcc, v7, v3, vcc
	s_waitcnt lgkmcnt(0)
	global_store_dword v[2:3], v4, off
	v_add_u32_e32 v2, 0x9a, v0
	v_mov_b32_e32 v3, v1
	v_lshlrev_b64 v[2:3], 2, v[2:3]
	v_add_u32_e32 v4, 0x400, v6
	v_add_co_u32_e32 v2, vcc, v8, v2
	v_addc_co_u32_e32 v3, vcc, v7, v3, vcc
	global_store_dword v[2:3], v5, off
	v_add_u32_e32 v2, 0x134, v0
	v_mov_b32_e32 v3, v1
	ds_read2_b32 v[4:5], v4 offset0:52 offset1:206
	v_lshlrev_b64 v[2:3], 2, v[2:3]
	v_add_co_u32_e32 v2, vcc, v8, v2
	v_addc_co_u32_e32 v3, vcc, v7, v3, vcc
	s_waitcnt lgkmcnt(0)
	global_store_dword v[2:3], v4, off
	v_add_u32_e32 v2, 0x1ce, v0
	v_mov_b32_e32 v3, v1
	v_lshlrev_b64 v[2:3], 2, v[2:3]
	v_add_u32_e32 v4, 0x900, v6
	v_add_co_u32_e32 v2, vcc, v8, v2
	v_addc_co_u32_e32 v3, vcc, v7, v3, vcc
	global_store_dword v[2:3], v5, off
	v_add_u32_e32 v2, 0x268, v0
	v_mov_b32_e32 v3, v1
	ds_read2_b32 v[4:5], v4 offset0:40 offset1:194
	;; [unrolled: 15-line block ×4, first 2 shown]
	v_lshlrev_b64 v[2:3], 2, v[2:3]
	v_add_co_u32_e32 v2, vcc, v8, v2
	v_addc_co_u32_e32 v3, vcc, v7, v3, vcc
	s_waitcnt lgkmcnt(0)
	global_store_dword v[2:3], v4, off
	v_add_u32_e32 v2, 0x56a, v0
	v_mov_b32_e32 v3, v1
	v_lshlrev_b64 v[2:3], 2, v[2:3]
	v_add_u32_e32 v0, 0x604, v0
	v_add_co_u32_e32 v2, vcc, v8, v2
	v_addc_co_u32_e32 v3, vcc, v7, v3, vcc
	global_store_dword v[2:3], v5, off
	ds_read_b32 v2, v6 offset:6160
	v_lshlrev_b64 v[0:1], 2, v[0:1]
	v_add_co_u32_e32 v0, vcc, v8, v0
	v_addc_co_u32_e32 v1, vcc, v7, v1, vcc
	s_waitcnt lgkmcnt(0)
	global_store_dword v[0:1], v2, off
.LBB0_29:
	s_endpgm
	.section	.rodata,"a",@progbits
	.p2align	6, 0x0
	.amdhsa_kernel fft_rtc_back_len1694_factors_11_2_11_7_wgs_154_tpt_154_halfLds_half_ip_CI_unitstride_sbrr_C2R_dirReg
		.amdhsa_group_segment_fixed_size 0
		.amdhsa_private_segment_fixed_size 0
		.amdhsa_kernarg_size 88
		.amdhsa_user_sgpr_count 6
		.amdhsa_user_sgpr_private_segment_buffer 1
		.amdhsa_user_sgpr_dispatch_ptr 0
		.amdhsa_user_sgpr_queue_ptr 0
		.amdhsa_user_sgpr_kernarg_segment_ptr 1
		.amdhsa_user_sgpr_dispatch_id 0
		.amdhsa_user_sgpr_flat_scratch_init 0
		.amdhsa_user_sgpr_private_segment_size 0
		.amdhsa_uses_dynamic_stack 0
		.amdhsa_system_sgpr_private_segment_wavefront_offset 0
		.amdhsa_system_sgpr_workgroup_id_x 1
		.amdhsa_system_sgpr_workgroup_id_y 0
		.amdhsa_system_sgpr_workgroup_id_z 0
		.amdhsa_system_sgpr_workgroup_info 0
		.amdhsa_system_vgpr_workitem_id 0
		.amdhsa_next_free_vgpr 61
		.amdhsa_next_free_sgpr 22
		.amdhsa_reserve_vcc 1
		.amdhsa_reserve_flat_scratch 0
		.amdhsa_float_round_mode_32 0
		.amdhsa_float_round_mode_16_64 0
		.amdhsa_float_denorm_mode_32 3
		.amdhsa_float_denorm_mode_16_64 3
		.amdhsa_dx10_clamp 1
		.amdhsa_ieee_mode 1
		.amdhsa_fp16_overflow 0
		.amdhsa_exception_fp_ieee_invalid_op 0
		.amdhsa_exception_fp_denorm_src 0
		.amdhsa_exception_fp_ieee_div_zero 0
		.amdhsa_exception_fp_ieee_overflow 0
		.amdhsa_exception_fp_ieee_underflow 0
		.amdhsa_exception_fp_ieee_inexact 0
		.amdhsa_exception_int_div_zero 0
	.end_amdhsa_kernel
	.text
.Lfunc_end0:
	.size	fft_rtc_back_len1694_factors_11_2_11_7_wgs_154_tpt_154_halfLds_half_ip_CI_unitstride_sbrr_C2R_dirReg, .Lfunc_end0-fft_rtc_back_len1694_factors_11_2_11_7_wgs_154_tpt_154_halfLds_half_ip_CI_unitstride_sbrr_C2R_dirReg
                                        ; -- End function
	.section	.AMDGPU.csdata,"",@progbits
; Kernel info:
; codeLenInByte = 10472
; NumSgprs: 26
; NumVgprs: 61
; ScratchSize: 0
; MemoryBound: 0
; FloatMode: 240
; IeeeMode: 1
; LDSByteSize: 0 bytes/workgroup (compile time only)
; SGPRBlocks: 3
; VGPRBlocks: 15
; NumSGPRsForWavesPerEU: 26
; NumVGPRsForWavesPerEU: 61
; Occupancy: 4
; WaveLimiterHint : 1
; COMPUTE_PGM_RSRC2:SCRATCH_EN: 0
; COMPUTE_PGM_RSRC2:USER_SGPR: 6
; COMPUTE_PGM_RSRC2:TRAP_HANDLER: 0
; COMPUTE_PGM_RSRC2:TGID_X_EN: 1
; COMPUTE_PGM_RSRC2:TGID_Y_EN: 0
; COMPUTE_PGM_RSRC2:TGID_Z_EN: 0
; COMPUTE_PGM_RSRC2:TIDIG_COMP_CNT: 0
	.type	__hip_cuid_3a6a5d2a3afa064f,@object ; @__hip_cuid_3a6a5d2a3afa064f
	.section	.bss,"aw",@nobits
	.globl	__hip_cuid_3a6a5d2a3afa064f
__hip_cuid_3a6a5d2a3afa064f:
	.byte	0                               ; 0x0
	.size	__hip_cuid_3a6a5d2a3afa064f, 1

	.ident	"AMD clang version 19.0.0git (https://github.com/RadeonOpenCompute/llvm-project roc-6.4.0 25133 c7fe45cf4b819c5991fe208aaa96edf142730f1d)"
	.section	".note.GNU-stack","",@progbits
	.addrsig
	.addrsig_sym __hip_cuid_3a6a5d2a3afa064f
	.amdgpu_metadata
---
amdhsa.kernels:
  - .args:
      - .actual_access:  read_only
        .address_space:  global
        .offset:         0
        .size:           8
        .value_kind:     global_buffer
      - .offset:         8
        .size:           8
        .value_kind:     by_value
      - .actual_access:  read_only
        .address_space:  global
        .offset:         16
        .size:           8
        .value_kind:     global_buffer
      - .actual_access:  read_only
        .address_space:  global
        .offset:         24
        .size:           8
        .value_kind:     global_buffer
      - .offset:         32
        .size:           8
        .value_kind:     by_value
      - .actual_access:  read_only
        .address_space:  global
        .offset:         40
        .size:           8
        .value_kind:     global_buffer
      - .actual_access:  read_only
        .address_space:  global
        .offset:         48
        .size:           8
        .value_kind:     global_buffer
      - .offset:         56
        .size:           4
        .value_kind:     by_value
      - .actual_access:  read_only
        .address_space:  global
        .offset:         64
        .size:           8
        .value_kind:     global_buffer
      - .actual_access:  read_only
        .address_space:  global
        .offset:         72
        .size:           8
        .value_kind:     global_buffer
      - .address_space:  global
        .offset:         80
        .size:           8
        .value_kind:     global_buffer
    .group_segment_fixed_size: 0
    .kernarg_segment_align: 8
    .kernarg_segment_size: 88
    .language:       OpenCL C
    .language_version:
      - 2
      - 0
    .max_flat_workgroup_size: 154
    .name:           fft_rtc_back_len1694_factors_11_2_11_7_wgs_154_tpt_154_halfLds_half_ip_CI_unitstride_sbrr_C2R_dirReg
    .private_segment_fixed_size: 0
    .sgpr_count:     26
    .sgpr_spill_count: 0
    .symbol:         fft_rtc_back_len1694_factors_11_2_11_7_wgs_154_tpt_154_halfLds_half_ip_CI_unitstride_sbrr_C2R_dirReg.kd
    .uniform_work_group_size: 1
    .uses_dynamic_stack: false
    .vgpr_count:     61
    .vgpr_spill_count: 0
    .wavefront_size: 64
amdhsa.target:   amdgcn-amd-amdhsa--gfx906
amdhsa.version:
  - 1
  - 2
...

	.end_amdgpu_metadata
